;; amdgpu-corpus repo=ROCm/rocFFT kind=compiled arch=gfx906 opt=O3
	.text
	.amdgcn_target "amdgcn-amd-amdhsa--gfx906"
	.amdhsa_code_object_version 6
	.protected	fft_rtc_fwd_len1456_factors_13_4_7_2_2_wgs_182_tpt_182_halfLds_dp_ip_CI_sbrr_dirReg ; -- Begin function fft_rtc_fwd_len1456_factors_13_4_7_2_2_wgs_182_tpt_182_halfLds_dp_ip_CI_sbrr_dirReg
	.globl	fft_rtc_fwd_len1456_factors_13_4_7_2_2_wgs_182_tpt_182_halfLds_dp_ip_CI_sbrr_dirReg
	.p2align	8
	.type	fft_rtc_fwd_len1456_factors_13_4_7_2_2_wgs_182_tpt_182_halfLds_dp_ip_CI_sbrr_dirReg,@function
fft_rtc_fwd_len1456_factors_13_4_7_2_2_wgs_182_tpt_182_halfLds_dp_ip_CI_sbrr_dirReg: ; @fft_rtc_fwd_len1456_factors_13_4_7_2_2_wgs_182_tpt_182_halfLds_dp_ip_CI_sbrr_dirReg
; %bb.0:
	s_load_dwordx2 s[2:3], s[4:5], 0x18
	s_load_dwordx4 s[8:11], s[4:5], 0x0
	s_load_dwordx2 s[14:15], s[4:5], 0x50
	v_mul_u32_u24_e32 v1, 0x169, v0
	v_add_u32_sdwa v5, s6, v1 dst_sel:DWORD dst_unused:UNUSED_PAD src0_sel:DWORD src1_sel:WORD_1
	s_waitcnt lgkmcnt(0)
	s_load_dwordx2 s[12:13], s[2:3], 0x0
	v_cmp_lt_u64_e64 s[0:1], s[10:11], 2
	v_mov_b32_e32 v3, 0
	v_mov_b32_e32 v1, 0
	;; [unrolled: 1-line block ×3, first 2 shown]
	s_and_b64 vcc, exec, s[0:1]
	v_mov_b32_e32 v2, 0
	s_cbranch_vccnz .LBB0_8
; %bb.1:
	s_load_dwordx2 s[0:1], s[4:5], 0x10
	s_add_u32 s6, s2, 8
	s_addc_u32 s7, s3, 0
	v_mov_b32_e32 v1, 0
	v_mov_b32_e32 v2, 0
	s_waitcnt lgkmcnt(0)
	s_add_u32 s16, s0, 8
	s_addc_u32 s17, s1, 0
	s_mov_b64 s[18:19], 1
.LBB0_2:                                ; =>This Inner Loop Header: Depth=1
	s_load_dwordx2 s[20:21], s[16:17], 0x0
                                        ; implicit-def: $vgpr7_vgpr8
	s_waitcnt lgkmcnt(0)
	v_or_b32_e32 v4, s21, v6
	v_cmp_ne_u64_e32 vcc, 0, v[3:4]
	s_and_saveexec_b64 s[0:1], vcc
	s_xor_b64 s[22:23], exec, s[0:1]
	s_cbranch_execz .LBB0_4
; %bb.3:                                ;   in Loop: Header=BB0_2 Depth=1
	v_cvt_f32_u32_e32 v4, s20
	v_cvt_f32_u32_e32 v7, s21
	s_sub_u32 s0, 0, s20
	s_subb_u32 s1, 0, s21
	v_mac_f32_e32 v4, 0x4f800000, v7
	v_rcp_f32_e32 v4, v4
	v_mul_f32_e32 v4, 0x5f7ffffc, v4
	v_mul_f32_e32 v7, 0x2f800000, v4
	v_trunc_f32_e32 v7, v7
	v_mac_f32_e32 v4, 0xcf800000, v7
	v_cvt_u32_f32_e32 v7, v7
	v_cvt_u32_f32_e32 v4, v4
	v_mul_lo_u32 v8, s0, v7
	v_mul_hi_u32 v9, s0, v4
	v_mul_lo_u32 v11, s1, v4
	v_mul_lo_u32 v10, s0, v4
	v_add_u32_e32 v8, v9, v8
	v_add_u32_e32 v8, v8, v11
	v_mul_hi_u32 v9, v4, v10
	v_mul_lo_u32 v11, v4, v8
	v_mul_hi_u32 v13, v4, v8
	v_mul_hi_u32 v12, v7, v10
	v_mul_lo_u32 v10, v7, v10
	v_mul_hi_u32 v14, v7, v8
	v_add_co_u32_e32 v9, vcc, v9, v11
	v_addc_co_u32_e32 v11, vcc, 0, v13, vcc
	v_mul_lo_u32 v8, v7, v8
	v_add_co_u32_e32 v9, vcc, v9, v10
	v_addc_co_u32_e32 v9, vcc, v11, v12, vcc
	v_addc_co_u32_e32 v10, vcc, 0, v14, vcc
	v_add_co_u32_e32 v8, vcc, v9, v8
	v_addc_co_u32_e32 v9, vcc, 0, v10, vcc
	v_add_co_u32_e32 v4, vcc, v4, v8
	v_addc_co_u32_e32 v7, vcc, v7, v9, vcc
	v_mul_lo_u32 v8, s0, v7
	v_mul_hi_u32 v9, s0, v4
	v_mul_lo_u32 v10, s1, v4
	v_mul_lo_u32 v11, s0, v4
	v_add_u32_e32 v8, v9, v8
	v_add_u32_e32 v8, v8, v10
	v_mul_lo_u32 v12, v4, v8
	v_mul_hi_u32 v13, v4, v11
	v_mul_hi_u32 v14, v4, v8
	;; [unrolled: 1-line block ×3, first 2 shown]
	v_mul_lo_u32 v11, v7, v11
	v_mul_hi_u32 v9, v7, v8
	v_add_co_u32_e32 v12, vcc, v13, v12
	v_addc_co_u32_e32 v13, vcc, 0, v14, vcc
	v_mul_lo_u32 v8, v7, v8
	v_add_co_u32_e32 v11, vcc, v12, v11
	v_addc_co_u32_e32 v10, vcc, v13, v10, vcc
	v_addc_co_u32_e32 v9, vcc, 0, v9, vcc
	v_add_co_u32_e32 v8, vcc, v10, v8
	v_addc_co_u32_e32 v9, vcc, 0, v9, vcc
	v_add_co_u32_e32 v4, vcc, v4, v8
	v_addc_co_u32_e32 v9, vcc, v7, v9, vcc
	v_mad_u64_u32 v[7:8], s[0:1], v5, v9, 0
	v_mul_hi_u32 v10, v5, v4
	v_add_co_u32_e32 v11, vcc, v10, v7
	v_addc_co_u32_e32 v12, vcc, 0, v8, vcc
	v_mad_u64_u32 v[7:8], s[0:1], v6, v4, 0
	v_mad_u64_u32 v[9:10], s[0:1], v6, v9, 0
	v_add_co_u32_e32 v4, vcc, v11, v7
	v_addc_co_u32_e32 v4, vcc, v12, v8, vcc
	v_addc_co_u32_e32 v7, vcc, 0, v10, vcc
	v_add_co_u32_e32 v4, vcc, v4, v9
	v_addc_co_u32_e32 v9, vcc, 0, v7, vcc
	v_mul_lo_u32 v10, s21, v4
	v_mul_lo_u32 v11, s20, v9
	v_mad_u64_u32 v[7:8], s[0:1], s20, v4, 0
	v_add3_u32 v8, v8, v11, v10
	v_sub_u32_e32 v10, v6, v8
	v_mov_b32_e32 v11, s21
	v_sub_co_u32_e32 v7, vcc, v5, v7
	v_subb_co_u32_e64 v10, s[0:1], v10, v11, vcc
	v_subrev_co_u32_e64 v11, s[0:1], s20, v7
	v_subbrev_co_u32_e64 v10, s[0:1], 0, v10, s[0:1]
	v_cmp_le_u32_e64 s[0:1], s21, v10
	v_cndmask_b32_e64 v12, 0, -1, s[0:1]
	v_cmp_le_u32_e64 s[0:1], s20, v11
	v_cndmask_b32_e64 v11, 0, -1, s[0:1]
	v_cmp_eq_u32_e64 s[0:1], s21, v10
	v_cndmask_b32_e64 v10, v12, v11, s[0:1]
	v_add_co_u32_e64 v11, s[0:1], 2, v4
	v_addc_co_u32_e64 v12, s[0:1], 0, v9, s[0:1]
	v_add_co_u32_e64 v13, s[0:1], 1, v4
	v_addc_co_u32_e64 v14, s[0:1], 0, v9, s[0:1]
	v_subb_co_u32_e32 v8, vcc, v6, v8, vcc
	v_cmp_ne_u32_e64 s[0:1], 0, v10
	v_cmp_le_u32_e32 vcc, s21, v8
	v_cndmask_b32_e64 v10, v14, v12, s[0:1]
	v_cndmask_b32_e64 v12, 0, -1, vcc
	v_cmp_le_u32_e32 vcc, s20, v7
	v_cndmask_b32_e64 v7, 0, -1, vcc
	v_cmp_eq_u32_e32 vcc, s21, v8
	v_cndmask_b32_e32 v7, v12, v7, vcc
	v_cmp_ne_u32_e32 vcc, 0, v7
	v_cndmask_b32_e64 v7, v13, v11, s[0:1]
	v_cndmask_b32_e32 v8, v9, v10, vcc
	v_cndmask_b32_e32 v7, v4, v7, vcc
.LBB0_4:                                ;   in Loop: Header=BB0_2 Depth=1
	s_andn2_saveexec_b64 s[0:1], s[22:23]
	s_cbranch_execz .LBB0_6
; %bb.5:                                ;   in Loop: Header=BB0_2 Depth=1
	v_cvt_f32_u32_e32 v4, s20
	s_sub_i32 s22, 0, s20
	v_rcp_iflag_f32_e32 v4, v4
	v_mul_f32_e32 v4, 0x4f7ffffe, v4
	v_cvt_u32_f32_e32 v4, v4
	v_mul_lo_u32 v7, s22, v4
	v_mul_hi_u32 v7, v4, v7
	v_add_u32_e32 v4, v4, v7
	v_mul_hi_u32 v4, v5, v4
	v_mul_lo_u32 v7, v4, s20
	v_add_u32_e32 v8, 1, v4
	v_sub_u32_e32 v7, v5, v7
	v_subrev_u32_e32 v9, s20, v7
	v_cmp_le_u32_e32 vcc, s20, v7
	v_cndmask_b32_e32 v7, v7, v9, vcc
	v_cndmask_b32_e32 v4, v4, v8, vcc
	v_add_u32_e32 v8, 1, v4
	v_cmp_le_u32_e32 vcc, s20, v7
	v_cndmask_b32_e32 v7, v4, v8, vcc
	v_mov_b32_e32 v8, v3
.LBB0_6:                                ;   in Loop: Header=BB0_2 Depth=1
	s_or_b64 exec, exec, s[0:1]
	v_mul_lo_u32 v4, v8, s20
	v_mul_lo_u32 v11, v7, s21
	v_mad_u64_u32 v[9:10], s[0:1], v7, s20, 0
	s_load_dwordx2 s[0:1], s[6:7], 0x0
	s_add_u32 s18, s18, 1
	v_add3_u32 v4, v10, v11, v4
	v_sub_co_u32_e32 v5, vcc, v5, v9
	v_subb_co_u32_e32 v4, vcc, v6, v4, vcc
	s_waitcnt lgkmcnt(0)
	v_mul_lo_u32 v4, s0, v4
	v_mul_lo_u32 v6, s1, v5
	v_mad_u64_u32 v[1:2], s[0:1], s0, v5, v[1:2]
	s_addc_u32 s19, s19, 0
	s_add_u32 s6, s6, 8
	v_add3_u32 v2, v6, v2, v4
	v_mov_b32_e32 v4, s10
	v_mov_b32_e32 v5, s11
	s_addc_u32 s7, s7, 0
	v_cmp_ge_u64_e32 vcc, s[18:19], v[4:5]
	s_add_u32 s16, s16, 8
	s_addc_u32 s17, s17, 0
	s_cbranch_vccnz .LBB0_9
; %bb.7:                                ;   in Loop: Header=BB0_2 Depth=1
	v_mov_b32_e32 v5, v7
	v_mov_b32_e32 v6, v8
	s_branch .LBB0_2
.LBB0_8:
	v_mov_b32_e32 v8, v6
	v_mov_b32_e32 v7, v5
.LBB0_9:
	s_lshl_b64 s[0:1], s[10:11], 3
	s_add_u32 s0, s2, s0
	s_addc_u32 s1, s3, s1
	s_load_dwordx2 s[2:3], s[0:1], 0x0
	s_load_dwordx2 s[6:7], s[4:5], 0x20
                                        ; implicit-def: $vgpr50_vgpr51
                                        ; implicit-def: $vgpr42_vgpr43
                                        ; implicit-def: $vgpr38_vgpr39
                                        ; implicit-def: $vgpr30_vgpr31
                                        ; implicit-def: $vgpr10_vgpr11
                                        ; implicit-def: $vgpr14_vgpr15
                                        ; implicit-def: $vgpr18_vgpr19
                                        ; implicit-def: $vgpr22_vgpr23
                                        ; implicit-def: $vgpr34_vgpr35
                                        ; implicit-def: $vgpr46_vgpr47
                                        ; implicit-def: $vgpr54_vgpr55
                                        ; implicit-def: $vgpr26_vgpr27
	s_waitcnt lgkmcnt(0)
	v_mad_u64_u32 v[1:2], s[0:1], s2, v7, v[1:2]
	s_mov_b32 s0, 0x1681682
	v_mul_lo_u32 v3, s2, v8
	v_mul_lo_u32 v4, s3, v7
	v_mul_hi_u32 v5, v0, s0
	v_cmp_gt_u64_e64 s[0:1], s[6:7], v[7:8]
	s_movk_i32 s2, 0x70
	v_add3_u32 v2, v4, v2, v3
	v_mul_u32_u24_e32 v3, 0xb6, v5
	v_sub_u32_e32 v72, v0, v3
	v_cmp_gt_u32_e32 vcc, s2, v72
	v_lshlrev_b64 v[74:75], 4, v[1:2]
	s_and_b64 s[2:3], s[0:1], vcc
                                        ; implicit-def: $vgpr6_vgpr7
	s_and_saveexec_b64 s[4:5], s[2:3]
	s_cbranch_execz .LBB0_11
; %bb.10:
	v_mad_u64_u32 v[0:1], s[2:3], s12, v72, 0
	v_add_u32_e32 v5, 0x70, v72
	v_mov_b32_e32 v4, s15
	v_mad_u64_u32 v[1:2], s[2:3], s13, v72, v[1:2]
	v_mad_u64_u32 v[2:3], s[2:3], s12, v5, 0
	v_add_co_u32_e64 v12, s[2:3], s14, v74
	v_addc_co_u32_e64 v13, s[2:3], v4, v75, s[2:3]
	v_mad_u64_u32 v[3:4], s[2:3], s13, v5, v[3:4]
	v_add_u32_e32 v6, 0xe0, v72
	v_mad_u64_u32 v[4:5], s[2:3], s12, v6, 0
	v_lshlrev_b64 v[0:1], 4, v[0:1]
	v_add_u32_e32 v8, 0x150, v72
	v_add_co_u32_e64 v0, s[2:3], v12, v0
	v_addc_co_u32_e64 v1, s[2:3], v13, v1, s[2:3]
	v_mad_u64_u32 v[5:6], s[2:3], s13, v6, v[5:6]
	v_mad_u64_u32 v[6:7], s[2:3], s12, v8, 0
	v_lshlrev_b64 v[2:3], 4, v[2:3]
	v_add_u32_e32 v10, 0x1c0, v72
	v_add_co_u32_e64 v2, s[2:3], v12, v2
	v_addc_co_u32_e64 v3, s[2:3], v13, v3, s[2:3]
	v_mad_u64_u32 v[7:8], s[2:3], s13, v8, v[7:8]
	v_mad_u64_u32 v[8:9], s[2:3], s12, v10, 0
	v_lshlrev_b64 v[4:5], 4, v[4:5]
	v_add_co_u32_e64 v56, s[2:3], v12, v4
	v_addc_co_u32_e64 v57, s[2:3], v13, v5, s[2:3]
	v_lshlrev_b64 v[4:5], 4, v[6:7]
	v_mov_b32_e32 v6, v9
	v_mad_u64_u32 v[6:7], s[2:3], s13, v10, v[6:7]
	v_add_u32_e32 v7, 0x230, v72
	v_mad_u64_u32 v[10:11], s[2:3], s12, v7, 0
	v_add_co_u32_e64 v58, s[2:3], v12, v4
	v_mov_b32_e32 v9, v6
	v_mov_b32_e32 v6, v11
	v_addc_co_u32_e64 v59, s[2:3], v13, v5, s[2:3]
	v_lshlrev_b64 v[4:5], 4, v[8:9]
	v_mad_u64_u32 v[6:7], s[2:3], s13, v7, v[6:7]
	v_add_u32_e32 v9, 0x2a0, v72
	v_mad_u64_u32 v[7:8], s[2:3], s12, v9, 0
	v_add_co_u32_e64 v60, s[2:3], v12, v4
	v_mov_b32_e32 v11, v6
	v_mov_b32_e32 v6, v8
	v_addc_co_u32_e64 v61, s[2:3], v13, v5, s[2:3]
	v_lshlrev_b64 v[4:5], 4, v[10:11]
	v_mad_u64_u32 v[8:9], s[2:3], s13, v9, v[6:7]
	v_add_u32_e32 v11, 0x310, v72
	v_mad_u64_u32 v[9:10], s[2:3], s12, v11, 0
	v_add_co_u32_e64 v62, s[2:3], v12, v4
	v_mov_b32_e32 v6, v10
	v_addc_co_u32_e64 v63, s[2:3], v13, v5, s[2:3]
	v_lshlrev_b64 v[4:5], 4, v[7:8]
	v_mad_u64_u32 v[6:7], s[2:3], s13, v11, v[6:7]
	v_or_b32_e32 v11, 0x380, v72
	v_mad_u64_u32 v[7:8], s[2:3], s12, v11, 0
	v_add_co_u32_e64 v64, s[2:3], v12, v4
	v_mov_b32_e32 v10, v6
	v_mov_b32_e32 v6, v8
	v_addc_co_u32_e64 v65, s[2:3], v13, v5, s[2:3]
	v_lshlrev_b64 v[4:5], 4, v[9:10]
	v_mad_u64_u32 v[8:9], s[2:3], s13, v11, v[6:7]
	v_add_u32_e32 v11, 0x3f0, v72
	v_mad_u64_u32 v[9:10], s[2:3], s12, v11, 0
	v_add_co_u32_e64 v66, s[2:3], v12, v4
	v_mov_b32_e32 v6, v10
	v_addc_co_u32_e64 v67, s[2:3], v13, v5, s[2:3]
	v_lshlrev_b64 v[4:5], 4, v[7:8]
	v_mad_u64_u32 v[6:7], s[2:3], s13, v11, v[6:7]
	v_add_u32_e32 v11, 0x460, v72
	v_mad_u64_u32 v[7:8], s[2:3], s12, v11, 0
	v_add_co_u32_e64 v68, s[2:3], v12, v4
	v_mov_b32_e32 v10, v6
	v_mov_b32_e32 v6, v8
	v_addc_co_u32_e64 v69, s[2:3], v13, v5, s[2:3]
	v_lshlrev_b64 v[4:5], 4, v[9:10]
	v_mad_u64_u32 v[8:9], s[2:3], s13, v11, v[6:7]
	v_add_u32_e32 v11, 0x4d0, v72
	v_mad_u64_u32 v[9:10], s[2:3], s12, v11, 0
	v_add_co_u32_e64 v70, s[2:3], v12, v4
	v_mov_b32_e32 v6, v10
	v_addc_co_u32_e64 v71, s[2:3], v13, v5, s[2:3]
	v_lshlrev_b64 v[4:5], 4, v[7:8]
	v_mad_u64_u32 v[6:7], s[2:3], s13, v11, v[6:7]
	v_add_u32_e32 v11, 0x540, v72
	v_mad_u64_u32 v[7:8], s[2:3], s12, v11, 0
	v_add_co_u32_e64 v76, s[2:3], v12, v4
	v_mov_b32_e32 v10, v6
	v_mov_b32_e32 v6, v8
	v_addc_co_u32_e64 v77, s[2:3], v13, v5, s[2:3]
	v_lshlrev_b64 v[4:5], 4, v[9:10]
	v_mad_u64_u32 v[8:9], s[2:3], s13, v11, v[6:7]
	v_add_co_u32_e64 v78, s[2:3], v12, v4
	v_addc_co_u32_e64 v79, s[2:3], v13, v5, s[2:3]
	v_lshlrev_b64 v[4:5], 4, v[7:8]
	v_add_co_u32_e64 v80, s[2:3], v12, v4
	v_addc_co_u32_e64 v81, s[2:3], v13, v5, s[2:3]
	global_load_dwordx4 v[24:27], v[0:1], off
	global_load_dwordx4 v[48:51], v[2:3], off
	;; [unrolled: 1-line block ×13, first 2 shown]
.LBB0_11:
	s_or_b64 exec, exec, s[4:5]
	s_waitcnt vmcnt(0)
	v_add_f64 v[68:69], v[48:49], v[4:5]
	s_mov_b32 s10, 0xebaa3ed8
	s_mov_b32 s11, 0x3fbedb7d
	v_add_f64 v[90:91], v[50:51], -v[6:7]
	v_add_f64 v[66:67], v[40:41], v[8:9]
	s_mov_b32 s2, 0xe00740e9
	s_mov_b32 s4, 0x1ea71119
	s_mov_b32 s6, 0xb2365da1
	v_mul_f64 v[64:65], v[68:69], s[10:11]
	s_mov_b32 s24, 0x66966769
	s_mov_b32 s16, 0x93053d00
	;; [unrolled: 1-line block ×9, first 2 shown]
	v_mul_f64 v[58:59], v[68:69], s[2:3]
	v_add_f64 v[108:109], v[42:43], -v[10:11]
	v_mul_f64 v[60:61], v[68:69], s[4:5]
	v_fma_f64 v[78:79], v[90:91], s[24:25], v[64:65]
	v_mul_f64 v[70:71], v[68:69], s[6:7]
	v_mul_f64 v[82:83], v[66:67], s[16:17]
	;; [unrolled: 1-line block ×3, first 2 shown]
	s_mov_b32 s30, 0x4267c47c
	s_mov_b32 s20, 0x42a4c3d2
	;; [unrolled: 1-line block ×10, first 2 shown]
	v_mul_f64 v[56:57], v[66:67], s[4:5]
	v_fma_f64 v[0:1], v[90:91], s[30:31], v[58:59]
	v_mul_f64 v[62:63], v[66:67], s[6:7]
	v_fma_f64 v[76:77], v[90:91], s[20:21], v[60:61]
	v_add_f64 v[78:79], v[78:79], v[24:25]
	v_fma_f64 v[84:85], v[90:91], s[22:23], v[70:71]
	v_fma_f64 v[92:93], v[108:109], s[26:27], v[82:83]
	v_add_f64 v[94:95], v[12:13], v[52:53]
	v_mul_f64 v[86:87], v[66:67], s[18:19]
	v_fma_f64 v[88:89], v[90:91], s[28:29], v[120:121]
	v_mul_f64 v[126:127], v[66:67], s[10:11]
	s_mov_b32 s39, 0x3fe5384d
	s_mov_b32 s38, s28
	;; [unrolled: 1-line block ×4, first 2 shown]
	v_fma_f64 v[2:3], v[108:109], s[20:21], v[56:57]
	v_add_f64 v[0:1], v[0:1], v[24:25]
	v_add_f64 v[76:77], v[76:77], v[24:25]
	v_fma_f64 v[80:81], v[108:109], s[22:23], v[62:63]
	v_add_f64 v[96:97], v[84:85], v[24:25]
	v_add_f64 v[130:131], v[54:55], -v[14:15]
	v_mul_f64 v[84:85], v[94:95], s[10:11]
	v_fma_f64 v[98:99], v[108:109], s[38:39], v[86:87]
	v_add_f64 v[100:101], v[88:89], v[24:25]
	v_fma_f64 v[102:103], v[108:109], s[34:35], v[126:127]
	v_mul_f64 v[88:89], v[94:95], s[16:17]
	v_add_f64 v[78:79], v[92:93], v[78:79]
	v_mul_f64 v[92:93], v[94:95], s[6:7]
	v_add_f64 v[104:105], v[16:17], v[44:45]
	s_mov_b32 s43, 0x3fedeba7
	s_mov_b32 s42, s22
	v_add_f64 v[0:1], v[2:3], v[0:1]
	v_fma_f64 v[2:3], v[130:131], s[24:25], v[84:85]
	v_add_f64 v[76:77], v[80:81], v[76:77]
	v_add_f64 v[80:81], v[98:99], v[96:97]
	v_add_f64 v[106:107], v[102:103], v[100:101]
	v_mul_f64 v[98:99], v[94:95], s[2:3]
	v_fma_f64 v[110:111], v[130:131], s[26:27], v[88:89]
	v_fma_f64 v[112:113], v[130:131], s[42:43], v[92:93]
	v_mul_f64 v[114:115], v[94:95], s[4:5]
	v_add_f64 v[148:149], v[46:47], -v[18:19]
	v_mul_f64 v[96:97], v[104:105], s[6:7]
	v_mul_f64 v[102:103], v[104:105], s[2:3]
	s_mov_b32 s37, 0x3fddbe06
	s_mov_b32 s36, s30
	v_mul_f64 v[100:101], v[104:105], s[18:19]
	v_fma_f64 v[116:117], v[130:131], s[36:37], v[98:99]
	v_add_f64 v[0:1], v[2:3], v[0:1]
	v_fma_f64 v[2:3], v[130:131], s[20:21], v[114:115]
	v_add_f64 v[76:77], v[110:111], v[76:77]
	;; [unrolled: 2-line block ×4, first 2 shown]
	v_mul_f64 v[118:119], v[104:105], s[10:11]
	v_fma_f64 v[122:123], v[148:149], s[38:39], v[100:101]
	v_add_f64 v[80:81], v[116:117], v[80:81]
	v_add_f64 v[2:3], v[2:3], v[106:107]
	;; [unrolled: 1-line block ×3, first 2 shown]
	v_mul_f64 v[134:135], v[104:105], s[16:17]
	v_add_f64 v[78:79], v[112:113], v[78:79]
	v_add_f64 v[138:139], v[38:39], -v[22:23]
	v_mul_f64 v[106:107], v[124:125], s[18:19]
	v_mul_f64 v[110:111], v[124:125], s[10:11]
	v_fma_f64 v[116:117], v[148:149], s[24:25], v[118:119]
	v_mul_f64 v[112:113], v[124:125], s[4:5]
	v_mul_f64 v[132:133], v[124:125], s[16:17]
	s_mov_b32 s41, 0x3fcea1e5
	s_mov_b32 s40, s26
	v_add_f64 v[76:77], v[122:123], v[76:77]
	v_fma_f64 v[122:123], v[148:149], s[40:41], v[134:135]
	v_fma_f64 v[128:129], v[138:139], s[28:29], v[106:107]
	;; [unrolled: 1-line block ×3, first 2 shown]
	v_mul_f64 v[140:141], v[124:125], s[2:3]
	v_add_f64 v[80:81], v[116:117], v[80:81]
	v_add_f64 v[136:137], v[28:29], v[32:33]
	v_fma_f64 v[144:145], v[138:139], s[20:21], v[112:113]
	v_fma_f64 v[146:147], v[138:139], s[40:41], v[132:133]
	v_add_f64 v[2:3], v[122:123], v[2:3]
	v_add_f64 v[150:151], v[128:129], v[0:1]
	;; [unrolled: 1-line block ×3, first 2 shown]
	v_fma_f64 v[76:77], v[138:139], s[36:37], v[140:141]
	v_add_f64 v[142:143], v[30:31], -v[34:35]
	v_mul_f64 v[116:117], v[136:137], s[2:3]
	v_mul_f64 v[122:123], v[136:137], s[18:19]
	v_add_f64 v[78:79], v[144:145], v[78:79]
	v_add_f64 v[80:81], v[146:147], v[80:81]
	v_mul_f64 v[144:145], v[136:137], s[4:5]
	v_mul_f64 v[146:147], v[136:137], s[6:7]
	;; [unrolled: 1-line block ×3, first 2 shown]
	s_mov_b32 s45, 0x3fea55e2
	s_mov_b32 s44, s20
	v_add_f64 v[2:3], v[76:77], v[2:3]
	v_fma_f64 v[76:77], v[142:143], s[36:37], v[116:117]
	v_fma_f64 v[152:153], v[142:143], s[28:29], v[122:123]
	;; [unrolled: 1-line block ×5, first 2 shown]
	v_add_f64 v[0:1], v[76:77], v[0:1]
	v_add_f64 v[76:77], v[152:153], v[78:79]
	;; [unrolled: 1-line block ×5, first 2 shown]
	s_and_saveexec_b64 s[46:47], vcc
	s_cbranch_execz .LBB0_13
; %bb.12:
	v_mul_f64 v[158:159], v[90:91], s[28:29]
	v_mul_f64 v[150:151], v[90:91], s[30:31]
	;; [unrolled: 1-line block ×8, first 2 shown]
	v_add_f64 v[120:121], v[120:121], -v[158:159]
	v_mul_f64 v[162:163], v[108:109], s[22:23]
	v_mul_f64 v[164:165], v[108:109], s[26:27]
	;; [unrolled: 1-line block ×5, first 2 shown]
	v_fma_f64 v[198:199], v[68:69], s[16:17], v[90:91]
	v_fma_f64 v[68:69], v[68:69], s[16:17], -v[90:91]
	v_add_f64 v[90:91], v[126:127], -v[168:169]
	v_add_f64 v[120:121], v[120:121], v[24:25]
	v_add_f64 v[126:127], v[48:49], v[24:25]
	v_mul_f64 v[188:189], v[148:149], s[40:41]
	v_add_f64 v[58:59], v[58:59], -v[150:151]
	v_fma_f64 v[158:159], v[66:67], s[2:3], v[108:109]
	v_fma_f64 v[66:67], v[66:67], s[2:3], -v[108:109]
	v_add_f64 v[68:69], v[68:69], v[24:25]
	v_add_f64 v[108:109], v[114:115], -v[178:179]
	v_add_f64 v[90:91], v[90:91], v[120:121]
	v_add_f64 v[114:115], v[40:41], v[126:127]
	v_add_f64 v[64:65], v[64:65], -v[154:155]
	v_add_f64 v[60:61], v[60:61], -v[152:153]
	v_mul_f64 v[170:171], v[130:131], s[24:25]
	v_mul_f64 v[172:173], v[130:131], s[26:27]
	v_add_f64 v[66:67], v[66:67], v[68:69]
	v_add_f64 v[68:69], v[134:135], -v[188:189]
	v_add_f64 v[90:91], v[108:109], v[90:91]
	v_add_f64 v[108:109], v[52:53], v[114:115]
	v_mul_f64 v[174:175], v[130:131], s[42:43]
	v_mul_f64 v[176:177], v[130:131], s[36:37]
	;; [unrolled: 1-line block ×3, first 2 shown]
	v_add_f64 v[198:199], v[198:199], v[24:25]
	v_add_f64 v[70:71], v[70:71], -v[156:157]
	v_add_f64 v[56:57], v[56:57], -v[160:161]
	v_add_f64 v[68:69], v[68:69], v[90:91]
	v_add_f64 v[90:91], v[44:45], v[108:109]
	;; [unrolled: 1-line block ×3, first 2 shown]
	v_add_f64 v[82:83], v[82:83], -v[164:165]
	v_add_f64 v[64:65], v[64:65], v[24:25]
	v_add_f64 v[62:63], v[62:63], -v[162:163]
	v_add_f64 v[60:61], v[60:61], v[24:25]
	v_mul_f64 v[180:181], v[148:149], s[22:23]
	v_mul_f64 v[182:183], v[148:149], s[38:39]
	v_add_f64 v[90:91], v[36:37], v[90:91]
	v_mul_f64 v[184:185], v[148:149], s[36:37]
	v_mul_f64 v[186:187], v[148:149], s[24:25]
	;; [unrolled: 1-line block ×3, first 2 shown]
	v_fma_f64 v[168:169], v[94:95], s[18:19], v[130:131]
	v_add_f64 v[158:159], v[158:159], v[198:199]
	v_add_f64 v[86:87], v[86:87], -v[166:167]
	v_add_f64 v[24:25], v[70:71], v[24:25]
	v_add_f64 v[90:91], v[28:29], v[90:91]
	v_add_f64 v[84:85], v[84:85], -v[170:171]
	v_add_f64 v[56:57], v[56:57], v[58:59]
	v_add_f64 v[70:71], v[92:93], -v[174:175]
	v_add_f64 v[64:65], v[82:83], v[64:65]
	v_add_f64 v[82:83], v[88:89], -v[172:173]
	v_add_f64 v[60:61], v[62:63], v[60:61]
	v_fma_f64 v[120:121], v[104:105], s[4:5], v[148:149]
	v_add_f64 v[90:91], v[32:33], v[90:91]
	v_add_f64 v[126:127], v[168:169], v[158:159]
	v_fma_f64 v[94:95], v[94:95], s[18:19], -v[130:131]
	v_add_f64 v[98:99], v[98:99], -v[176:177]
	v_add_f64 v[24:25], v[86:87], v[24:25]
	v_mul_f64 v[190:191], v[138:139], s[28:29]
	v_add_f64 v[86:87], v[96:97], -v[180:181]
	v_add_f64 v[56:57], v[84:85], v[56:57]
	v_add_f64 v[58:59], v[20:21], v[90:91]
	v_mul_f64 v[192:193], v[138:139], s[34:35]
	v_mul_f64 v[194:195], v[138:139], s[20:21]
	v_add_f64 v[62:63], v[102:103], -v[184:185]
	v_add_f64 v[64:65], v[70:71], v[64:65]
	v_add_f64 v[70:71], v[100:101], -v[182:183]
	v_add_f64 v[60:61], v[82:83], v[60:61]
	v_mul_f64 v[196:197], v[138:139], s[40:41]
	v_add_f64 v[58:59], v[16:17], v[58:59]
	v_mul_f64 v[200:201], v[138:139], s[36:37]
	;; [unrolled: 2-line block ×3, first 2 shown]
	v_fma_f64 v[104:105], v[104:105], s[4:5], -v[148:149]
	v_add_f64 v[66:67], v[94:95], v[66:67]
	v_add_f64 v[118:119], v[118:119], -v[186:187]
	v_add_f64 v[24:25], v[98:99], v[24:25]
	v_mul_f64 v[138:139], v[138:139], s[22:23]
	v_mul_f64 v[202:203], v[142:143], s[26:27]
	v_add_f64 v[84:85], v[106:107], -v[190:191]
	v_add_f64 v[56:57], v[86:87], v[56:57]
	v_add_f64 v[58:59], v[12:13], v[58:59]
	v_mul_f64 v[204:205], v[142:143], s[36:37]
	v_mul_f64 v[206:207], v[142:143], s[28:29]
	v_add_f64 v[82:83], v[112:113], -v[194:195]
	v_add_f64 v[62:63], v[62:63], v[64:65]
	v_add_f64 v[64:65], v[110:111], -v[192:193]
	v_add_f64 v[60:61], v[70:71], v[60:61]
	v_mul_f64 v[208:209], v[142:143], s[44:45]
	v_add_f64 v[94:95], v[140:141], -v[200:201]
	v_add_f64 v[66:67], v[104:105], v[66:67]
	v_add_f64 v[104:105], v[146:147], -v[126:127]
	v_add_f64 v[126:127], v[132:133], -v[196:197]
	v_add_f64 v[24:25], v[118:119], v[24:25]
	v_mul_f64 v[158:159], v[142:143], s[34:35]
	v_fma_f64 v[114:115], v[124:125], s[6:7], v[138:139]
	v_fma_f64 v[124:125], v[124:125], s[6:7], -v[138:139]
	v_add_f64 v[86:87], v[128:129], -v[202:203]
	v_add_f64 v[56:57], v[84:85], v[56:57]
	v_add_f64 v[58:59], v[8:9], v[58:59]
	v_add_f64 v[70:71], v[122:123], -v[206:207]
	v_add_f64 v[62:63], v[82:83], v[62:63]
	v_add_f64 v[82:83], v[116:117], -v[204:205]
	v_add_f64 v[60:61], v[64:65], v[60:61]
	v_add_f64 v[68:69], v[94:95], v[68:69]
	v_add_f64 v[94:95], v[144:145], -v[208:209]
	v_add_f64 v[24:25], v[126:127], v[24:25]
	v_fma_f64 v[108:109], v[136:137], s[10:11], v[158:159]
	v_add_f64 v[114:115], v[114:115], v[120:121]
	v_fma_f64 v[120:121], v[136:137], s[10:11], -v[158:159]
	v_add_f64 v[64:65], v[124:125], v[66:67]
	v_add_f64 v[56:57], v[86:87], v[56:57]
	;; [unrolled: 1-line block ×9, first 2 shown]
	s_movk_i32 s33, 0x68
	v_mad_u32_u24 v70, v72, s33, 0
	ds_write2_b64 v70, v[58:59], v[56:57] offset1:1
	ds_write2_b64 v70, v[60:61], v[62:63] offset0:2 offset1:3
	ds_write2_b64 v70, v[24:25], v[68:69] offset0:4 offset1:5
	;; [unrolled: 1-line block ×5, first 2 shown]
	ds_write_b64 v70, v[2:3] offset:96
.LBB0_13:
	s_or_b64 exec, exec, s[46:47]
	v_add_f64 v[126:127], v[48:49], -v[4:5]
	v_add_f64 v[114:115], v[50:51], v[6:7]
	v_add_f64 v[108:109], v[40:41], -v[8:9]
	v_add_f64 v[90:91], v[42:43], v[10:11]
	;; [unrolled: 2-line block ×4, first 2 shown]
	v_mul_f64 v[140:141], v[126:127], s[30:31]
	v_mul_f64 v[142:143], v[126:127], s[20:21]
	;; [unrolled: 1-line block ×8, first 2 shown]
	v_fma_f64 v[4:5], v[114:115], s[2:3], -v[140:141]
	v_mul_f64 v[134:135], v[108:109], s[38:39]
	v_fma_f64 v[8:9], v[114:115], s[4:5], -v[142:143]
	v_mul_f64 v[136:137], v[108:109], s[34:35]
	v_fma_f64 v[12:13], v[114:115], s[10:11], -v[144:145]
	v_fma_f64 v[40:41], v[114:115], s[6:7], -v[146:147]
	;; [unrolled: 1-line block ×4, first 2 shown]
	v_add_f64 v[4:5], v[4:5], v[26:27]
	v_fma_f64 v[56:57], v[90:91], s[6:7], -v[130:131]
	v_add_f64 v[8:9], v[8:9], v[26:27]
	v_mul_f64 v[104:105], v[86:87], s[24:25]
	v_fma_f64 v[58:59], v[90:91], s[16:17], -v[132:133]
	v_fma_f64 v[60:61], v[90:91], s[18:19], -v[134:135]
	v_add_f64 v[12:13], v[12:13], v[26:27]
	v_add_f64 v[40:41], v[40:41], v[26:27]
	;; [unrolled: 1-line block ×4, first 2 shown]
	v_fma_f64 v[52:53], v[90:91], s[10:11], -v[136:137]
	v_mul_f64 v[116:117], v[86:87], s[26:27]
	v_mul_f64 v[118:119], v[86:87], s[42:43]
	;; [unrolled: 1-line block ×3, first 2 shown]
	v_add_f64 v[8:9], v[56:57], v[8:9]
	v_fma_f64 v[56:57], v[24:25], s[10:11], -v[104:105]
	v_add_f64 v[12:13], v[58:59], v[12:13]
	v_add_f64 v[40:41], v[60:61], v[40:41]
	;; [unrolled: 1-line block ×3, first 2 shown]
	v_fma_f64 v[44:45], v[24:25], s[16:17], -v[116:117]
	v_fma_f64 v[48:49], v[24:25], s[6:7], -v[118:119]
	;; [unrolled: 1-line block ×3, first 2 shown]
	v_mul_f64 v[138:139], v[86:87], s[20:21]
	v_mul_f64 v[98:99], v[96:97], s[22:23]
	;; [unrolled: 1-line block ×4, first 2 shown]
	v_add_f64 v[82:83], v[36:37], -v[20:21]
	v_add_f64 v[4:5], v[56:57], v[4:5]
	v_add_f64 v[8:9], v[44:45], v[8:9]
	;; [unrolled: 1-line block ×4, first 2 shown]
	v_fma_f64 v[36:37], v[24:25], s[4:5], -v[138:139]
	v_fma_f64 v[44:45], v[88:89], s[6:7], -v[98:99]
	;; [unrolled: 1-line block ×4, first 2 shown]
	v_mul_f64 v[122:123], v[96:97], s[24:25]
	v_mul_f64 v[124:125], v[96:97], s[40:41]
	v_add_f64 v[20:21], v[38:39], v[22:23]
	v_mul_f64 v[92:93], v[82:83], s[28:29]
	v_mul_f64 v[94:95], v[82:83], s[34:35]
	v_add_f64 v[16:17], v[36:37], v[16:17]
	v_add_f64 v[4:5], v[44:45], v[4:5]
	;; [unrolled: 1-line block ×3, first 2 shown]
	v_fma_f64 v[36:37], v[88:89], s[10:11], -v[122:123]
	v_add_f64 v[44:45], v[52:53], v[12:13]
	v_fma_f64 v[48:49], v[88:89], s[16:17], -v[124:125]
	v_fma_f64 v[52:53], v[20:21], s[18:19], -v[92:93]
	;; [unrolled: 1-line block ×3, first 2 shown]
	v_mul_f64 v[100:101], v[82:83], s[20:21]
	v_mul_f64 v[106:107], v[82:83], s[40:41]
	;; [unrolled: 1-line block ×3, first 2 shown]
	v_add_f64 v[12:13], v[28:29], -v[32:33]
	v_add_f64 v[40:41], v[36:37], v[40:41]
	v_add_f64 v[48:49], v[48:49], v[16:17]
	;; [unrolled: 1-line block ×4, first 2 shown]
	v_fma_f64 v[8:9], v[20:21], s[4:5], -v[100:101]
	v_fma_f64 v[58:59], v[20:21], s[16:17], -v[106:107]
	;; [unrolled: 1-line block ×3, first 2 shown]
	v_add_f64 v[4:5], v[30:31], v[34:35]
	v_mul_f64 v[16:17], v[12:13], s[26:27]
	v_mul_f64 v[28:29], v[12:13], s[36:37]
	;; [unrolled: 1-line block ×5, first 2 shown]
	v_add_f64 v[44:45], v[8:9], v[44:45]
	v_add_f64 v[58:59], v[58:59], v[40:41]
	;; [unrolled: 1-line block ×3, first 2 shown]
	v_fma_f64 v[8:9], v[4:5], s[16:17], -v[16:17]
	v_fma_f64 v[40:41], v[4:5], s[2:3], -v[28:29]
	;; [unrolled: 1-line block ×5, first 2 shown]
	v_lshl_add_u32 v150, v72, 3, 0
	v_add_u32_e32 v73, 0xa00, v150
	v_add_u32_e32 v151, 0x1600, v150
	v_add_f64 v[8:9], v[8:9], v[52:53]
	v_add_f64 v[40:41], v[40:41], v[56:57]
	v_add_f64 v[44:45], v[48:49], v[44:45]
	v_add_f64 v[48:49], v[62:63], v[58:59]
	v_add_f64 v[52:53], v[64:65], v[60:61]
	v_add_u32_e32 v152, 0x2000, v150
	s_waitcnt lgkmcnt(0)
	s_barrier
	ds_read2_b64 v[60:63], v150 offset1:182
	ds_read2_b64 v[64:67], v73 offset0:44 offset1:226
	ds_read2_b64 v[56:59], v151 offset0:24 offset1:206
	;; [unrolled: 1-line block ×3, first 2 shown]
	s_waitcnt lgkmcnt(0)
	s_barrier
	s_and_saveexec_b64 s[20:21], vcc
	s_cbranch_execz .LBB0_15
; %bb.14:
	v_add_f64 v[50:51], v[50:51], v[26:27]
	v_mul_f64 v[153:154], v[114:115], s[2:3]
	v_mul_f64 v[177:178], v[24:25], s[2:3]
	;; [unrolled: 1-line block ×5, first 2 shown]
	s_mov_b32 s2, 0x4bc48dbf
	s_mov_b32 s3, 0xbfcea1e5
	v_add_f64 v[42:43], v[42:43], v[50:51]
	v_mul_f64 v[155:156], v[114:115], s[4:5]
	v_mul_f64 v[157:158], v[114:115], s[10:11]
	;; [unrolled: 1-line block ×5, first 2 shown]
	s_mov_b32 s2, 0x93053d00
	s_mov_b32 s3, 0xbfef11f4
	v_add_f64 v[42:43], v[54:55], v[42:43]
	v_mul_f64 v[163:164], v[90:91], s[4:5]
	v_mul_f64 v[165:166], v[90:91], s[6:7]
	;; [unrolled: 1-line block ×7, first 2 shown]
	v_add_f64 v[42:43], v[46:47], v[42:43]
	v_mul_f64 v[175:176], v[24:25], s[6:7]
	v_mul_f64 v[54:55], v[24:25], s[4:5]
	;; [unrolled: 1-line block ×3, first 2 shown]
	v_add_f64 v[50:51], v[50:51], v[132:133]
	v_add_f64 v[132:133], v[169:170], v[136:137]
	v_mul_f64 v[181:182], v[88:89], s[18:19]
	v_mul_f64 v[185:186], v[88:89], s[10:11]
	v_add_f64 v[38:39], v[38:39], v[42:43]
	v_mul_f64 v[187:188], v[88:89], s[16:17]
	v_add_f64 v[54:55], v[54:55], v[138:139]
	v_mul_f64 v[189:190], v[20:21], s[18:19]
	v_mul_f64 v[46:47], v[20:21], s[10:11]
	;; [unrolled: 1-line block ×5, first 2 shown]
	v_add_f64 v[30:31], v[30:31], v[38:39]
	v_add_f64 v[38:39], v[153:154], v[140:141]
	;; [unrolled: 1-line block ×6, first 2 shown]
	v_fma_f64 v[148:149], v[114:115], s[2:3], v[126:127]
	v_fma_f64 v[114:115], v[114:115], s[2:3], -v[126:127]
	s_mov_b32 s2, 0x4267c47c
	s_mov_b32 s3, 0x3fddbe06
	v_mul_f64 v[108:109], v[108:109], s[2:3]
	s_mov_b32 s2, 0xe00740e9
	s_mov_b32 s3, 0x3fec55a7
	v_add_f64 v[30:31], v[34:35], v[30:31]
	v_add_f64 v[34:35], v[38:39], v[26:27]
	;; [unrolled: 1-line block ×11, first 2 shown]
	v_fma_f64 v[134:135], v[90:91], s[2:3], v[108:109]
	v_fma_f64 v[90:91], v[90:91], s[2:3], -v[108:109]
	s_mov_b32 s2, 0x24c2f84
	s_mov_b32 s3, 0xbfe5384d
	v_mul_f64 v[86:87], v[86:87], s[2:3]
	s_mov_b32 s2, 0xd0032e0c
	s_mov_b32 s3, 0xbfe7f3cc
	v_add_f64 v[22:23], v[22:23], v[30:31]
	v_add_f64 v[30:31], v[114:115], v[34:35]
	;; [unrolled: 1-line block ×7, first 2 shown]
	v_fma_f64 v[120:121], v[24:25], s[2:3], v[86:87]
	v_fma_f64 v[24:25], v[24:25], s[2:3], -v[86:87]
	s_mov_b32 s2, 0x42a4c3d2
	s_mov_b32 s3, 0x3fea55e2
	v_add_f64 v[34:35], v[128:129], v[38:39]
	v_add_f64 v[38:39], v[50:51], v[126:127]
	v_add_f64 v[50:51], v[130:131], v[140:141]
	v_add_f64 v[108:109], v[132:133], v[142:143]
	v_add_f64 v[114:115], v[134:135], v[144:145]
	v_add_f64 v[24:25], v[24:25], v[26:27]
	v_mul_f64 v[26:27], v[96:97], s[2:3]
	s_mov_b32 s2, 0x1ea71119
	s_mov_b32 s3, 0x3fe22d96
	v_add_f64 v[18:19], v[18:19], v[22:23]
	v_add_f64 v[22:23], v[90:91], v[30:31]
	;; [unrolled: 1-line block ×5, first 2 shown]
	v_fma_f64 v[104:105], v[88:89], s[2:3], v[26:27]
	v_fma_f64 v[26:27], v[88:89], s[2:3], -v[26:27]
	s_mov_b32 s2, 0x2ef20147
	v_add_f64 v[50:51], v[54:55], v[108:109]
	v_add_f64 v[54:55], v[120:121], v[114:115]
	;; [unrolled: 1-line block ×7, first 2 shown]
	s_mov_b32 s3, 0xbfedeba7
	v_add_f64 v[24:25], v[26:27], v[24:25]
	v_mul_f64 v[26:27], v[82:83], s[2:3]
	s_mov_b32 s2, 0xb2365da1
	v_add_f64 v[14:15], v[14:15], v[18:19]
	v_add_f64 v[18:19], v[86:87], v[22:23]
	;; [unrolled: 1-line block ×8, first 2 shown]
	s_mov_b32 s3, 0xbfd6b1d8
	v_mul_f64 v[201:202], v[4:5], s[18:19]
	v_add_f64 v[46:47], v[46:47], v[94:95]
	v_add_f64 v[82:83], v[191:192], v[100:101]
	v_fma_f64 v[90:91], v[20:21], s[2:3], v[26:27]
	v_fma_f64 v[20:21], v[20:21], s[2:3], -v[26:27]
	s_mov_b32 s2, 0x66966769
	v_mul_f64 v[42:43], v[4:5], s[4:5]
	v_mul_f64 v[203:204], v[4:5], s[6:7]
	v_add_f64 v[86:87], v[193:194], v[106:107]
	v_add_f64 v[88:89], v[195:196], v[112:113]
	s_mov_b32 s3, 0x3fefc445
	v_mul_f64 v[12:13], v[12:13], s[2:3]
	v_add_f64 v[10:11], v[10:11], v[14:15]
	v_add_f64 v[14:15], v[54:55], v[18:19]
	;; [unrolled: 1-line block ×8, first 2 shown]
	s_mov_b32 s2, 0xebaa3ed8
	v_add_f64 v[26:27], v[86:87], v[34:35]
	v_add_f64 v[30:31], v[88:89], v[38:39]
	;; [unrolled: 1-line block ×4, first 2 shown]
	s_mov_b32 s3, 0x3fbedb7d
	v_add_f64 v[34:35], v[90:91], v[50:51]
	v_fma_f64 v[38:39], v[4:5], s[2:3], v[12:13]
	v_fma_f64 v[4:5], v[4:5], s[2:3], -v[12:13]
	v_add_f64 v[6:7], v[6:7], v[10:11]
	v_add_f64 v[10:11], v[16:17], v[14:15]
	;; [unrolled: 1-line block ×8, first 2 shown]
	s_movk_i32 s2, 0x60
	v_mad_u32_u24 v20, v72, s2, v150
	ds_write2_b64 v20, v[6:7], v[10:11] offset1:1
	ds_write2_b64 v20, v[12:13], v[14:15] offset0:2 offset1:3
	ds_write2_b64 v20, v[16:17], v[18:19] offset0:4 offset1:5
	;; [unrolled: 1-line block ×5, first 2 shown]
	ds_write_b64 v20, v[8:9] offset:96
.LBB0_15:
	s_or_b64 exec, exec, s[20:21]
	s_movk_i32 s2, 0x4f
	v_add_u32_e32 v82, 0xb6, v72
	v_mul_lo_u16_sdwa v4, v72, s2 dst_sel:DWORD dst_unused:UNUSED_PAD src0_sel:BYTE_0 src1_sel:DWORD
	s_movk_i32 s2, 0x4ec5
	v_lshrrev_b16_e32 v91, 10, v4
	v_mul_u32_u24_sdwa v15, v82, s2 dst_sel:DWORD dst_unused:UNUSED_PAD src0_sel:WORD_0 src1_sel:DWORD
	v_mul_lo_u16_e32 v4, 13, v91
	v_lshrrev_b32_e32 v94, 18, v15
	v_sub_u16_e32 v92, v72, v4
	v_mov_b32_e32 v93, 3
	v_mul_lo_u16_e32 v15, 13, v94
	v_mul_u32_u24_sdwa v4, v92, v93 dst_sel:DWORD dst_unused:UNUSED_PAD src0_sel:BYTE_0 src1_sel:DWORD
	v_sub_u16_e32 v95, v82, v15
	v_lshlrev_b32_e32 v14, 4, v4
	v_mul_u32_u24_e32 v15, 3, v95
	s_waitcnt lgkmcnt(0)
	s_barrier
	global_load_dwordx4 v[10:13], v14, s[8:9] offset:16
	global_load_dwordx4 v[4:7], v14, s[8:9]
	global_load_dwordx4 v[18:21], v14, s[8:9] offset:32
	v_lshlrev_b32_e32 v30, 4, v15
	global_load_dwordx4 v[22:25], v30, s[8:9]
	global_load_dwordx4 v[14:17], v30, s[8:9] offset:16
	global_load_dwordx4 v[26:29], v30, s[8:9] offset:32
	ds_read2_b64 v[34:37], v73 offset0:44 offset1:226
	ds_read2_b64 v[30:33], v151 offset0:24 offset1:206
	ds_read2_b64 v[83:86], v152 offset0:68 offset1:250
	v_cmp_gt_u32_e32 vcc, 26, v72
	s_waitcnt vmcnt(5) lgkmcnt(1)
	v_mul_f64 v[42:43], v[30:31], v[12:13]
	s_waitcnt vmcnt(4)
	v_mul_f64 v[38:39], v[34:35], v[6:7]
	s_waitcnt vmcnt(3) lgkmcnt(0)
	v_mul_f64 v[46:47], v[83:84], v[20:21]
	s_waitcnt vmcnt(2)
	v_mul_f64 v[50:51], v[36:37], v[24:25]
	s_waitcnt vmcnt(1)
	;; [unrolled: 2-line block ×3, first 2 shown]
	v_mul_f64 v[87:88], v[85:86], v[28:29]
	v_mul_f64 v[6:7], v[64:65], v[6:7]
	;; [unrolled: 1-line block ×5, first 2 shown]
	v_fma_f64 v[38:39], v[64:65], v[4:5], -v[38:39]
	v_fma_f64 v[42:43], v[56:57], v[10:11], -v[42:43]
	;; [unrolled: 1-line block ×6, first 2 shown]
	v_fma_f64 v[46:47], v[34:35], v[4:5], v[6:7]
	v_fma_f64 v[4:5], v[83:84], v[18:19], v[20:21]
	;; [unrolled: 1-line block ×4, first 2 shown]
	v_add_f64 v[18:19], v[60:61], -v[42:43]
	v_add_f64 v[54:55], v[38:39], -v[64:65]
	;; [unrolled: 1-line block ×4, first 2 shown]
	v_lshlrev_b32_sdwa v42, v93, v92 dst_sel:DWORD dst_unused:UNUSED_PAD src0_sel:DWORD src1_sel:BYTE_0
	v_add_f64 v[68:69], v[46:47], -v[4:5]
	v_lshlrev_b32_e32 v43, 3, v95
	v_add_f64 v[66:67], v[50:51], -v[6:7]
	v_fma_f64 v[6:7], v[60:61], 2.0, -v[18:19]
	v_fma_f64 v[22:23], v[38:39], 2.0, -v[54:55]
	;; [unrolled: 1-line block ×4, first 2 shown]
	v_mul_u32_u24_e32 v38, 0x1a0, v91
	v_add_f64 v[28:29], v[18:19], -v[68:69]
	v_mul_u32_u24_e32 v39, 0x1a0, v94
	v_add_f64 v[4:5], v[20:21], -v[66:67]
	v_add3_u32 v63, 0, v38, v42
	v_add_f64 v[22:23], v[6:7], -v[22:23]
	ds_read2_b64 v[34:37], v150 offset1:182
	v_add_f64 v[26:27], v[24:25], -v[26:27]
	v_add_u32_e32 v60, 0xc00, v150
	v_fma_f64 v[18:19], v[18:19], 2.0, -v[28:29]
	v_add_u32_e32 v61, 0x1a00, v150
	v_fma_f64 v[20:21], v[20:21], 2.0, -v[4:5]
	v_add3_u32 v62, 0, v39, v43
	v_fma_f64 v[6:7], v[6:7], 2.0, -v[22:23]
	s_waitcnt lgkmcnt(0)
	v_fma_f64 v[24:25], v[24:25], 2.0, -v[26:27]
	s_barrier
	ds_write2_b64 v63, v[22:23], v[28:29] offset0:26 offset1:39
	ds_write2_b64 v63, v[6:7], v[18:19] offset1:13
	ds_write2_b64 v62, v[24:25], v[20:21] offset1:13
	ds_write2_b64 v62, v[26:27], v[4:5] offset0:26 offset1:39
	s_waitcnt lgkmcnt(0)
	s_barrier
	ds_read2_b64 v[18:21], v150 offset1:208
	ds_read2_b64 v[26:29], v60 offset0:32 offset1:240
	ds_read2_b64 v[22:25], v61 offset1:208
	ds_read_b64 v[42:43], v150 offset:9984
                                        ; implicit-def: $vgpr38_vgpr39
	s_and_saveexec_b64 s[2:3], vcc
	s_cbranch_execz .LBB0_17
; %bb.16:
	v_add_u32_e32 v0, 0x1f00, v150
	v_add_u32_e32 v4, 0x1200, v150
	ds_read2_b64 v[0:3], v0 offset0:22 offset1:230
	ds_read2_b64 v[78:81], v4 offset0:22 offset1:230
	v_add_u32_e32 v4, 0x500, v150
	ds_read2_b64 v[4:7], v4 offset0:22 offset1:230
	ds_read_b64 v[38:39], v150 offset:11440
	s_waitcnt lgkmcnt(2)
	v_mov_b32_e32 v76, v80
	v_mov_b32_e32 v77, v81
	s_waitcnt lgkmcnt(1)
	v_mov_b32_e32 v81, v7
	v_mov_b32_e32 v80, v6
.LBB0_17:
	s_or_b64 exec, exec, s[2:3]
	v_mul_f64 v[6:7], v[56:57], v[12:13]
	v_mul_f64 v[12:13], v[58:59], v[16:17]
	v_fma_f64 v[16:17], v[50:51], 2.0, -v[66:67]
	s_waitcnt lgkmcnt(0)
	s_barrier
	v_fma_f64 v[6:7], v[30:31], v[10:11], v[6:7]
	v_fma_f64 v[10:11], v[32:33], v[14:15], v[12:13]
	v_fma_f64 v[14:15], v[46:47], 2.0, -v[68:69]
                                        ; implicit-def: $vgpr46_vgpr47
	v_add_f64 v[6:7], v[34:35], -v[6:7]
	v_add_f64 v[12:13], v[36:37], -v[10:11]
	v_fma_f64 v[30:31], v[34:35], 2.0, -v[6:7]
	v_fma_f64 v[32:33], v[36:37], 2.0, -v[12:13]
	v_add_f64 v[34:35], v[6:7], v[54:55]
	v_add_f64 v[10:11], v[12:13], v[64:65]
	v_add_f64 v[14:15], v[30:31], -v[14:15]
	v_add_f64 v[16:17], v[32:33], -v[16:17]
	v_fma_f64 v[6:7], v[6:7], 2.0, -v[34:35]
	v_fma_f64 v[12:13], v[12:13], 2.0, -v[10:11]
	;; [unrolled: 1-line block ×4, first 2 shown]
	ds_write2_b64 v63, v[14:15], v[34:35] offset0:26 offset1:39
	ds_write2_b64 v63, v[30:31], v[6:7] offset1:13
	ds_write2_b64 v62, v[32:33], v[12:13] offset1:13
	ds_write2_b64 v62, v[16:17], v[10:11] offset0:26 offset1:39
	s_waitcnt lgkmcnt(0)
	s_barrier
	ds_read2_b64 v[14:17], v150 offset1:208
	ds_read2_b64 v[34:37], v60 offset0:32 offset1:240
	ds_read2_b64 v[30:33], v61 offset1:208
	ds_read_b64 v[50:51], v150 offset:9984
	s_and_saveexec_b64 s[2:3], vcc
	s_cbranch_execz .LBB0_19
; %bb.18:
	v_add_u32_e32 v6, 0x1f00, v150
	v_add_u32_e32 v10, 0x1200, v150
	ds_read2_b64 v[6:9], v6 offset0:22 offset1:230
	ds_read2_b64 v[52:55], v10 offset0:22 offset1:230
	v_add_u32_e32 v10, 0x500, v150
	ds_read2_b64 v[10:13], v10 offset0:22 offset1:230
	ds_read_b64 v[46:47], v150 offset:11440
	s_waitcnt lgkmcnt(3)
	v_mov_b32_e32 v41, v7
	s_waitcnt lgkmcnt(2)
	v_mov_b32_e32 v48, v52
	v_mov_b32_e32 v44, v54
	;; [unrolled: 1-line block ×3, first 2 shown]
	s_waitcnt lgkmcnt(1)
	v_mov_b32_e32 v53, v13
	v_mov_b32_e32 v40, v6
	;; [unrolled: 1-line block ×4, first 2 shown]
.LBB0_19:
	s_or_b64 exec, exec, s[2:3]
	s_movk_i32 s2, 0x4f
	v_mul_lo_u16_sdwa v6, v72, s2 dst_sel:DWORD dst_unused:UNUSED_PAD src0_sel:BYTE_0 src1_sel:DWORD
	v_lshrrev_b16_e32 v6, 12, v6
	v_mul_lo_u16_e32 v7, 52, v6
	v_sub_u16_e32 v7, v72, v7
	v_mov_b32_e32 v12, 6
	v_mul_u32_u24_sdwa v12, v7, v12 dst_sel:DWORD dst_unused:UNUSED_PAD src0_sel:BYTE_0 src1_sel:DWORD
	v_lshlrev_b32_e32 v12, 4, v12
	global_load_dwordx4 v[56:59], v12, s[8:9] offset:640
	global_load_dwordx4 v[60:63], v12, s[8:9] offset:624
	;; [unrolled: 1-line block ×6, first 2 shown]
	s_movk_i32 s2, 0x4ec5
	v_mul_u32_u24_sdwa v12, v82, s2 dst_sel:DWORD dst_unused:UNUSED_PAD src0_sel:WORD_0 src1_sel:DWORD
	v_lshrrev_b32_e32 v12, 20, v12
	v_mul_lo_u16_e32 v12, 52, v12
	v_sub_u16_e32 v71, v82, v12
	v_mul_u32_u24_e32 v12, 6, v71
	v_lshlrev_b32_e32 v12, 4, v12
	global_load_dwordx4 v[95:98], v12, s[8:9] offset:624
	global_load_dwordx4 v[99:102], v12, s[8:9] offset:640
	;; [unrolled: 1-line block ×6, first 2 shown]
	v_mov_b32_e32 v12, 3
	v_mul_u32_u24_e32 v6, 0xb60, v6
	v_lshlrev_b32_sdwa v7, v12, v7 dst_sel:DWORD dst_unused:UNUSED_PAD src0_sel:DWORD src1_sel:BYTE_0
	v_add3_u32 v68, 0, v6, v7
	s_mov_b32 s4, 0x37e14327
	s_mov_b32 s10, 0xe976ee23
	;; [unrolled: 1-line block ×20, first 2 shown]
	s_waitcnt vmcnt(0) lgkmcnt(0)
	s_barrier
	v_mul_f64 v[6:7], v[16:17], v[62:63]
	v_mul_f64 v[12:13], v[20:21], v[62:63]
	;; [unrolled: 1-line block ×12, first 2 shown]
	v_fma_f64 v[6:7], v[20:21], v[60:61], -v[6:7]
	v_fma_f64 v[54:55], v[16:17], v[60:61], v[12:13]
	v_fma_f64 v[16:17], v[26:27], v[56:57], -v[62:63]
	v_fma_f64 v[56:57], v[34:35], v[56:57], v[58:59]
	v_fma_f64 v[12:13], v[42:43], v[87:88], -v[123:124]
	v_fma_f64 v[58:59], v[24:25], v[91:92], -v[66:67]
	;; [unrolled: 1-line block ×3, first 2 shown]
	v_fma_f64 v[60:61], v[36:37], v[83:84], v[85:86]
	v_fma_f64 v[66:67], v[32:33], v[91:92], v[93:94]
	v_fma_f64 v[62:63], v[22:23], v[64:65], -v[119:120]
	v_fma_f64 v[64:65], v[30:31], v[64:65], v[121:122]
	v_fma_f64 v[50:51], v[50:51], v[87:88], v[89:90]
	v_add_f64 v[26:27], v[6:7], v[12:13]
	v_add_f64 v[28:29], v[16:17], v[58:59]
	v_mul_f64 v[125:126], v[52:53], v[97:98]
	v_mul_f64 v[97:98], v[80:81], v[97:98]
	v_add_f64 v[24:25], v[56:57], -v[66:67]
	v_add_f64 v[30:31], v[42:43], v[62:63]
	v_add_f64 v[32:33], v[64:65], -v[60:61]
	v_add_f64 v[83:84], v[54:55], -v[50:51]
	v_mul_f64 v[127:128], v[48:49], v[101:102]
	v_add_f64 v[85:86], v[28:29], v[26:27]
	v_fma_f64 v[20:21], v[80:81], v[95:96], -v[125:126]
	v_fma_f64 v[22:23], v[52:53], v[95:96], v[97:98]
	v_mul_f64 v[101:102], v[78:79], v[101:102]
	v_add_f64 v[80:81], v[26:27], -v[30:31]
	v_add_f64 v[91:92], v[32:33], -v[24:25]
	;; [unrolled: 1-line block ×3, first 2 shown]
	v_add_f64 v[93:94], v[32:33], v[24:25]
	v_add_f64 v[85:86], v[30:31], v[85:86]
	v_add_f64 v[30:31], v[30:31], -v[28:29]
	v_add_f64 v[32:33], v[83:84], -v[32:33]
	v_fma_f64 v[24:25], v[78:79], v[99:100], -v[127:128]
	v_mul_f64 v[80:81], v[80:81], s[4:5]
	v_mul_f64 v[91:92], v[91:92], s[10:11]
	;; [unrolled: 1-line block ×3, first 2 shown]
	v_add_f64 v[26:27], v[28:29], -v[26:27]
	v_add_f64 v[18:19], v[18:19], v[85:86]
	v_mul_f64 v[28:29], v[30:31], s[2:3]
	v_mul_f64 v[129:130], v[44:45], v[105:106]
	v_add_f64 v[83:84], v[93:94], v[83:84]
	v_fma_f64 v[30:31], v[30:31], s[2:3], v[80:81]
	v_fma_f64 v[93:94], v[32:33], s[22:23], v[91:92]
	v_fma_f64 v[52:53], v[52:53], s[6:7], -v[91:92]
	v_fma_f64 v[32:33], v[32:33], s[26:27], -v[78:79]
	v_fma_f64 v[78:79], v[85:86], s[16:17], v[18:19]
	v_fma_f64 v[80:81], v[26:27], s[20:21], -v[80:81]
	v_fma_f64 v[85:86], v[26:27], s[18:19], -v[28:29]
	v_mul_f64 v[105:106], v[76:77], v[105:106]
	v_mul_f64 v[131:132], v[40:41], v[109:110]
	v_fma_f64 v[28:29], v[48:49], v[99:100], v[101:102]
	v_fma_f64 v[26:27], v[76:77], v[103:104], -v[129:130]
	v_fma_f64 v[48:49], v[83:84], s[24:25], v[93:94]
	v_fma_f64 v[52:53], v[83:84], s[24:25], v[52:53]
	;; [unrolled: 1-line block ×3, first 2 shown]
	v_add_f64 v[83:84], v[30:31], v[78:79]
	v_mul_f64 v[34:35], v[0:1], v[109:110]
	v_mul_f64 v[36:37], v[8:9], v[113:114]
	;; [unrolled: 1-line block ×5, first 2 shown]
	v_add_f64 v[80:81], v[80:81], v[78:79]
	v_add_f64 v[78:79], v[85:86], v[78:79]
	v_fma_f64 v[32:33], v[0:1], v[107:108], -v[131:132]
	v_add_f64 v[0:1], v[48:49], v[83:84]
	v_fma_f64 v[30:31], v[44:45], v[103:104], v[105:106]
	v_fma_f64 v[34:35], v[40:41], v[107:108], v[34:35]
	v_fma_f64 v[36:37], v[2:3], v[111:112], -v[36:37]
	v_fma_f64 v[8:9], v[8:9], v[111:112], v[69:70]
	v_add_f64 v[2:3], v[76:77], v[80:81]
	v_add_f64 v[44:45], v[78:79], -v[52:53]
	v_fma_f64 v[38:39], v[38:39], v[115:116], -v[87:88]
	v_fma_f64 v[40:41], v[46:47], v[115:116], v[89:90]
	v_add_f64 v[52:53], v[52:53], v[78:79]
	v_add_f64 v[69:70], v[80:81], -v[76:77]
	v_add_f64 v[48:49], v[83:84], -v[48:49]
	v_add_u32_e32 v46, 0x400, v68
	ds_write2_b64 v68, v[18:19], v[0:1] offset1:52
	ds_write2_b64 v68, v[2:3], v[44:45] offset0:104 offset1:156
	ds_write2_b64 v46, v[52:53], v[69:70] offset0:80 offset1:132
	ds_write_b64 v68, v[48:49] offset:2496
	v_lshl_add_u32 v44, v71, 3, 0
	s_and_saveexec_b64 s[28:29], vcc
	s_cbranch_execz .LBB0_21
; %bb.20:
	v_add_f64 v[0:1], v[24:25], v[36:37]
	v_add_f64 v[2:3], v[20:21], v[38:39]
	v_add_f64 v[18:19], v[34:35], -v[30:31]
	v_add_f64 v[47:48], v[28:29], -v[8:9]
	v_add_f64 v[52:53], v[26:27], v[32:33]
	v_add_f64 v[69:70], v[22:23], -v[40:41]
	v_add_u32_e32 v45, 0x2000, v44
	v_add_f64 v[76:77], v[0:1], v[2:3]
	v_add_f64 v[78:79], v[18:19], -v[47:48]
	v_add_f64 v[80:81], v[2:3], -v[52:53]
	;; [unrolled: 1-line block ×4, first 2 shown]
	v_add_f64 v[47:48], v[18:19], v[47:48]
	v_add_f64 v[18:19], v[69:70], -v[18:19]
	v_add_f64 v[52:53], v[52:53], v[76:77]
	v_add_f64 v[0:1], v[0:1], -v[2:3]
	v_mul_f64 v[2:3], v[78:79], s[10:11]
	v_mul_f64 v[76:77], v[80:81], s[4:5]
	;; [unrolled: 1-line block ×4, first 2 shown]
	v_add_f64 v[47:48], v[47:48], v[69:70]
	v_add_f64 v[4:5], v[4:5], v[52:53]
	v_fma_f64 v[69:70], v[18:19], s[22:23], v[2:3]
	v_fma_f64 v[87:88], v[0:1], s[20:21], -v[76:77]
	v_fma_f64 v[18:19], v[18:19], s[26:27], -v[78:79]
	;; [unrolled: 1-line block ×4, first 2 shown]
	v_fma_f64 v[76:77], v[85:86], s[2:3], v[76:77]
	v_fma_f64 v[52:53], v[52:53], s[16:17], v[4:5]
	;; [unrolled: 1-line block ×5, first 2 shown]
	v_add_f64 v[47:48], v[87:88], v[52:53]
	v_add_f64 v[0:1], v[0:1], v[52:53]
	;; [unrolled: 1-line block ×3, first 2 shown]
	v_add_f64 v[76:77], v[47:48], -v[18:19]
	v_add_f64 v[78:79], v[0:1], -v[2:3]
	v_add_f64 v[80:81], v[69:70], v[52:53]
	v_add_f64 v[18:19], v[18:19], v[47:48]
	;; [unrolled: 1-line block ×3, first 2 shown]
	v_add_f64 v[2:3], v[52:53], -v[69:70]
	v_add_u32_e32 v47, 0x2800, v44
	ds_write2_b64 v45, v[4:5], v[80:81] offset0:68 offset1:120
	ds_write2_b64 v45, v[18:19], v[78:79] offset0:172 offset1:224
	;; [unrolled: 1-line block ×3, first 2 shown]
	ds_write_b64 v44, v[2:3] offset:11232
.LBB0_21:
	s_or_b64 exec, exec, s[28:29]
	v_add_f64 v[0:1], v[54:55], v[50:51]
	v_add_f64 v[2:3], v[56:57], v[66:67]
	v_add_f64 v[4:5], v[16:17], -v[58:59]
	v_add_f64 v[16:17], v[60:61], v[64:65]
	v_add_f64 v[18:19], v[62:63], -v[42:43]
	v_add_f64 v[6:7], v[6:7], -v[12:13]
	v_add_u32_e32 v45, 0x2000, v150
	s_waitcnt lgkmcnt(0)
	s_barrier
	v_add_f64 v[12:13], v[2:3], v[0:1]
	v_add_f64 v[42:43], v[0:1], -v[16:17]
	v_add_f64 v[47:48], v[18:19], -v[4:5]
	;; [unrolled: 1-line block ×3, first 2 shown]
	v_add_f64 v[4:5], v[18:19], v[4:5]
	v_add_f64 v[18:19], v[6:7], -v[18:19]
	v_add_f64 v[0:1], v[2:3], -v[0:1]
	v_add_f64 v[12:13], v[16:17], v[12:13]
	v_add_f64 v[16:17], v[16:17], -v[2:3]
	v_mul_f64 v[42:43], v[42:43], s[4:5]
	v_mul_f64 v[47:48], v[47:48], s[10:11]
	;; [unrolled: 1-line block ×3, first 2 shown]
	v_add_f64 v[4:5], v[4:5], v[6:7]
	s_movk_i32 s4, 0x2000
	v_add_f64 v[53:54], v[14:15], v[12:13]
	v_mul_f64 v[2:3], v[16:17], s[2:3]
	v_fma_f64 v[6:7], v[16:17], s[2:3], v[42:43]
	v_fma_f64 v[14:15], v[18:19], s[22:23], v[47:48]
	v_fma_f64 v[16:17], v[49:50], s[6:7], -v[47:48]
	v_fma_f64 v[18:19], v[18:19], s[26:27], -v[51:52]
	v_fma_f64 v[47:48], v[0:1], s[20:21], -v[42:43]
	v_add_u32_e32 v42, 0x1600, v150
	v_fma_f64 v[12:13], v[12:13], s[16:17], v[53:54]
	v_fma_f64 v[49:50], v[0:1], s[18:19], -v[2:3]
	ds_read2_b64 v[0:3], v150 offset1:182
	v_fma_f64 v[51:52], v[4:5], s[24:25], v[14:15]
	v_fma_f64 v[16:17], v[4:5], s[24:25], v[16:17]
	;; [unrolled: 1-line block ×3, first 2 shown]
	v_add_u32_e32 v43, 0xa00, v150
	v_add_f64 v[55:56], v[6:7], v[12:13]
	v_add_f64 v[47:48], v[47:48], v[12:13]
	v_add_f64 v[49:50], v[49:50], v[12:13]
	ds_read2_b64 v[12:15], v42 offset0:24 offset1:206
	ds_read2_b64 v[4:7], v43 offset0:44 offset1:226
	v_add_f64 v[57:58], v[55:56], -v[51:52]
	v_add_f64 v[59:60], v[47:48], -v[18:19]
	v_add_f64 v[61:62], v[16:17], v[49:50]
	v_add_f64 v[49:50], v[49:50], -v[16:17]
	v_add_f64 v[47:48], v[18:19], v[47:48]
	v_add_f64 v[51:52], v[51:52], v[55:56]
	ds_read2_b64 v[16:19], v45 offset0:68 offset1:250
	s_waitcnt lgkmcnt(0)
	s_barrier
	ds_write2_b64 v68, v[53:54], v[57:58] offset1:52
	ds_write2_b64 v68, v[59:60], v[61:62] offset0:104 offset1:156
	ds_write2_b64 v46, v[49:50], v[47:48] offset0:80 offset1:132
	ds_write_b64 v68, v[51:52] offset:2496
	s_and_saveexec_b64 s[2:3], vcc
	s_cbranch_execz .LBB0_23
; %bb.22:
	v_add_f64 v[22:23], v[22:23], v[40:41]
	v_add_f64 v[8:9], v[28:29], v[8:9]
	;; [unrolled: 1-line block ×3, first 2 shown]
	v_add_f64 v[24:25], v[24:25], -v[36:37]
	v_add_f64 v[26:27], v[32:33], -v[26:27]
	;; [unrolled: 1-line block ×3, first 2 shown]
	s_mov_b32 s10, 0x36b3c0b5
	s_mov_b32 s6, 0x37e14327
	;; [unrolled: 1-line block ×3, first 2 shown]
	v_add_f64 v[30:31], v[8:9], v[22:23]
	v_add_f64 v[32:33], v[22:23], -v[28:29]
	s_mov_b32 s7, 0x3fe948f6
	v_add_f64 v[34:35], v[26:27], v[24:25]
	v_add_f64 v[36:37], v[26:27], -v[24:25]
	v_add_f64 v[24:25], v[24:25], -v[20:21]
	s_mov_b32 s16, 0xe976ee23
	s_mov_b32 s17, 0xbfe11646
	v_add_f64 v[30:31], v[28:29], v[30:31]
	v_add_f64 v[28:29], v[28:29], -v[8:9]
	v_add_f64 v[8:9], v[8:9], -v[22:23]
	;; [unrolled: 1-line block ×3, first 2 shown]
	s_mov_b32 s18, 0x429ad128
	v_mul_f64 v[32:33], v[32:33], s[6:7]
	s_mov_b32 s19, 0x3febfeb5
	v_add_f64 v[20:21], v[34:35], v[20:21]
	v_add_f64 v[10:11], v[10:11], v[30:31]
	v_mul_f64 v[26:27], v[28:29], s[10:11]
	v_mul_f64 v[34:35], v[36:37], s[16:17]
	;; [unrolled: 1-line block ×3, first 2 shown]
	s_mov_b32 s7, 0x3fe77f67
	s_mov_b32 s6, 0x5476071b
	s_mov_b32 s20, 0xaaaaaaaa
	s_mov_b32 s21, 0xbff2aaaa
	v_fma_f64 v[28:29], v[28:29], s[10:11], v[32:33]
	v_fma_f64 v[26:27], v[8:9], s[6:7], -v[26:27]
	s_mov_b32 s7, 0xbfe77f67
	v_fma_f64 v[8:9], v[8:9], s[6:7], -v[32:33]
	s_mov_b32 s7, 0x3fd5d0dc
	s_mov_b32 s6, 0xb247c609
	v_fma_f64 v[30:31], v[30:31], s[20:21], v[10:11]
	v_fma_f64 v[32:33], v[22:23], s[6:7], v[34:35]
	s_mov_b32 s7, 0xbfd5d0dc
	v_fma_f64 v[22:23], v[22:23], s[6:7], -v[36:37]
	v_fma_f64 v[24:25], v[24:25], s[18:19], -v[34:35]
	s_mov_b32 s6, 0x37c3f68c
	s_mov_b32 s7, 0x3fdc38aa
	v_add_f64 v[28:29], v[28:29], v[30:31]
	v_add_f64 v[26:27], v[26:27], v[30:31]
	;; [unrolled: 1-line block ×3, first 2 shown]
	v_fma_f64 v[30:31], v[20:21], s[6:7], v[32:33]
	v_fma_f64 v[22:23], v[20:21], s[6:7], v[22:23]
	;; [unrolled: 1-line block ×3, first 2 shown]
	v_add_f64 v[24:25], v[28:29], -v[30:31]
	v_add_f64 v[32:33], v[8:9], -v[22:23]
	v_add_f64 v[34:35], v[20:21], v[26:27]
	v_add_f64 v[20:21], v[26:27], -v[20:21]
	v_add_f64 v[8:9], v[22:23], v[8:9]
	v_add_f64 v[22:23], v[30:31], v[28:29]
	v_add_u32_e32 v26, 0x2000, v44
	ds_write2_b64 v26, v[10:11], v[24:25] offset0:68 offset1:120
	ds_write2_b64 v26, v[32:33], v[34:35] offset0:172 offset1:224
	v_add_u32_e32 v10, 0x2800, v44
	ds_write2_b64 v10, v[20:21], v[8:9] offset0:20 offset1:72
	ds_write_b64 v44, v[22:23] offset:11232
.LBB0_23:
	s_or_b64 exec, exec, s[2:3]
	v_mov_b32_e32 v73, 0
	v_lshlrev_b64 v[8:9], 4, v[72:73]
	v_mov_b32_e32 v10, s9
	v_add_co_u32_e32 v23, vcc, s8, v8
	v_addc_co_u32_e32 v22, vcc, v10, v9, vcc
	s_movk_i32 s2, 0x1000
	v_add_co_u32_e32 v28, vcc, s2, v23
	v_addc_co_u32_e32 v29, vcc, 0, v22, vcc
	v_add_co_u32_e32 v20, vcc, s4, v23
	s_waitcnt lgkmcnt(0)
	s_barrier
	v_addc_co_u32_e32 v21, vcc, 0, v22, vcc
	global_load_dwordx4 v[8:11], v[28:29], off offset:1520
	global_load_dwordx4 v[24:27], v[20:21], off offset:336
	ds_read2_b64 v[28:31], v150 offset1:182
	ds_read2_b64 v[32:35], v42 offset0:24 offset1:206
	ds_read2_b64 v[36:39], v43 offset0:44 offset1:226
	;; [unrolled: 1-line block ×3, first 2 shown]
	s_waitcnt vmcnt(0) lgkmcnt(0)
	s_barrier
	v_mul_f64 v[40:41], v[32:33], v[10:11]
	v_mul_f64 v[50:51], v[34:35], v[26:27]
	;; [unrolled: 1-line block ×8, first 2 shown]
	v_fma_f64 v[12:13], v[12:13], v[8:9], -v[40:41]
	v_fma_f64 v[14:15], v[14:15], v[24:25], -v[50:51]
	;; [unrolled: 1-line block ×4, first 2 shown]
	v_fma_f64 v[32:33], v[32:33], v[8:9], v[56:57]
	v_fma_f64 v[34:35], v[34:35], v[24:25], v[58:59]
	;; [unrolled: 1-line block ×4, first 2 shown]
	v_add_f64 v[12:13], v[0:1], -v[12:13]
	v_add_f64 v[14:15], v[2:3], -v[14:15]
	;; [unrolled: 1-line block ×8, first 2 shown]
	v_fma_f64 v[0:1], v[0:1], 2.0, -v[12:13]
	v_fma_f64 v[2:3], v[2:3], 2.0, -v[14:15]
	;; [unrolled: 1-line block ×6, first 2 shown]
	ds_write2_b64 v43, v[12:13], v[14:15] offset0:44 offset1:226
	ds_write2_b64 v45, v[16:17], v[18:19] offset0:68 offset1:250
	ds_write2_b64 v150, v[0:1], v[2:3] offset1:182
	ds_write2_b64 v42, v[4:5], v[6:7] offset0:24 offset1:206
	s_waitcnt lgkmcnt(0)
	s_barrier
	ds_read2_b64 v[4:7], v150 offset1:182
	ds_read2_b64 v[12:15], v42 offset0:24 offset1:206
	ds_read2_b64 v[0:3], v43 offset0:44 offset1:226
	;; [unrolled: 1-line block ×3, first 2 shown]
	v_fma_f64 v[36:37], v[36:37], 2.0, -v[32:33]
	v_fma_f64 v[38:39], v[38:39], 2.0, -v[34:35]
	s_waitcnt lgkmcnt(0)
	s_barrier
	ds_write2_b64 v150, v[28:29], v[30:31] offset1:182
	ds_write2_b64 v43, v[24:25], v[26:27] offset0:44 offset1:226
	ds_write2_b64 v42, v[36:37], v[38:39] offset0:24 offset1:206
	;; [unrolled: 1-line block ×3, first 2 shown]
	s_waitcnt lgkmcnt(0)
	s_barrier
	s_and_saveexec_b64 s[2:3], s[0:1]
	s_cbranch_execz .LBB0_25
; %bb.24:
	v_add_co_u32_e32 v16, vcc, 0xb60, v23
	v_addc_co_u32_e32 v17, vcc, 0, v22, vcc
	v_add_co_u32_e64 v27, s[0:1], s4, v16
	v_addc_co_u32_e64 v28, s[0:1], 0, v17, s[0:1]
	v_add_co_u32_e32 v35, vcc, 0x4000, v23
	global_load_dwordx4 v[16:19], v[27:28], off offset:3248
	global_load_dwordx4 v[23:26], v[20:21], off offset:3248
	v_addc_co_u32_e32 v36, vcc, 0, v22, vcc
	global_load_dwordx4 v[27:30], v[35:36], off offset:3792
	global_load_dwordx4 v[31:34], v[35:36], off offset:880
	v_mad_u64_u32 v[51:52], s[0:1], s12, v82, 0
	v_mad_u64_u32 v[20:21], s[0:1], s12, v72, 0
	v_add_u32_e32 v62, 0x16c, v72
	v_add_u32_e32 v22, 0xa00, v150
	;; [unrolled: 1-line block ×4, first 2 shown]
	v_mov_b32_e32 v53, s15
	v_add_u32_e32 v60, 0x2d8, v72
	v_add_u32_e32 v61, 0x38e, v72
	v_add_co_u32_e32 v68, vcc, s14, v74
	ds_read2_b64 v[35:38], v150 offset1:182
	s_mov_b32 s3, 0x16816817
	ds_read2_b64 v[39:42], v22 offset0:44 offset1:226
	ds_read2_b64 v[43:46], v43 offset0:68 offset1:250
	;; [unrolled: 1-line block ×3, first 2 shown]
	v_addc_co_u32_e32 v69, vcc, v53, v75, vcc
	v_mad_u64_u32 v[53:54], s[0:1], s12, v60, 0
	v_mad_u64_u32 v[55:56], s[0:1], s12, v61, 0
	v_lshrrev_b32_e32 v22, 3, v62
	v_mul_hi_u32 v63, v22, s3
	v_mov_b32_e32 v22, v52
	v_mad_u64_u32 v[57:58], s[0:1], s13, v72, v[21:22]
	v_mov_b32_e32 v21, v54
	s_movk_i32 s2, 0x2d8
	v_add_u32_e32 v67, 0x222, v72
	s_waitcnt vmcnt(2)
	v_mad_u64_u32 v[58:59], s[0:1], s13, v82, v[22:23]
	v_mov_b32_e32 v22, v56
	v_mad_u64_u32 v[59:60], s[0:1], s13, v60, v[21:22]
	v_lshrrev_b32_e32 v21, 3, v63
	v_mad_u64_u32 v[60:61], s[0:1], s13, v61, v[22:23]
	v_mad_u32_u24 v70, v21, s2, v62
	v_mov_b32_e32 v21, v57
	v_lshlrev_b64 v[20:21], 4, v[20:21]
	v_mov_b32_e32 v52, v58
	v_add_co_u32_e32 v57, vcc, v68, v20
	v_mov_b32_e32 v54, v59
	v_mov_b32_e32 v56, v60
	v_addc_co_u32_e32 v58, vcc, v69, v21, vcc
	v_mul_f64 v[20:21], v[14:15], v[18:19]
	s_waitcnt lgkmcnt(0)
	v_mul_f64 v[18:19], v[49:50], v[18:19]
	v_mul_f64 v[59:60], v[12:13], v[25:26]
	;; [unrolled: 1-line block ×3, first 2 shown]
	s_waitcnt vmcnt(1)
	v_mul_f64 v[63:64], v[10:11], v[29:30]
	v_mul_f64 v[29:30], v[45:46], v[29:30]
	s_waitcnt vmcnt(0)
	v_mul_f64 v[65:66], v[8:9], v[33:34]
	v_mul_f64 v[33:34], v[43:44], v[33:34]
	v_fma_f64 v[20:21], v[49:50], v[16:17], v[20:21]
	v_fma_f64 v[14:15], v[14:15], v[16:17], -v[18:19]
	v_fma_f64 v[16:17], v[47:48], v[23:24], v[59:60]
	v_fma_f64 v[12:13], v[12:13], v[23:24], -v[25:26]
	;; [unrolled: 2-line block ×4, first 2 shown]
	v_add_f64 v[10:11], v[37:38], -v[20:21]
	v_add_f64 v[8:9], v[6:7], -v[14:15]
	v_add_f64 v[14:15], v[35:36], -v[16:17]
	v_add_f64 v[12:13], v[4:5], -v[12:13]
	v_lshlrev_b64 v[51:52], 4, v[51:52]
	v_add_f64 v[16:17], v[2:3], -v[22:23]
	v_add_f64 v[22:23], v[39:40], -v[24:25]
	;; [unrolled: 1-line block ×3, first 2 shown]
	v_fma_f64 v[26:27], v[37:38], 2.0, -v[10:11]
	v_fma_f64 v[24:25], v[6:7], 2.0, -v[8:9]
	v_fma_f64 v[6:7], v[35:36], 2.0, -v[14:15]
	v_fma_f64 v[4:5], v[4:5], 2.0, -v[12:13]
	v_mad_u64_u32 v[61:62], s[0:1], s12, v70, 0
	v_lshlrev_b64 v[53:54], 4, v[53:54]
	v_add_co_u32_e32 v51, vcc, v68, v51
	v_addc_co_u32_e32 v52, vcc, v69, v52, vcc
	v_add_co_u32_e32 v32, vcc, v68, v53
	v_addc_co_u32_e32 v33, vcc, v69, v54, vcc
	global_store_dwordx4 v[57:58], v[4:7], off
	global_store_dwordx4 v[32:33], v[12:15], off
	;; [unrolled: 1-line block ×3, first 2 shown]
	v_lshlrev_b64 v[4:5], 4, v[55:56]
	v_mov_b32_e32 v6, v62
	v_mad_u64_u32 v[6:7], s[0:1], s13, v70, v[6:7]
	v_add_co_u32_e32 v4, vcc, v68, v4
	v_addc_co_u32_e32 v5, vcc, v69, v5, vcc
	global_store_dwordx4 v[4:5], v[8:11], off
	v_mov_b32_e32 v62, v6
	v_add_u32_e32 v8, 0x2d8, v70
	v_mad_u64_u32 v[6:7], s[0:1], s12, v8, 0
	v_fma_f64 v[28:29], v[2:3], 2.0, -v[16:17]
	v_fma_f64 v[2:3], v[39:40], 2.0, -v[22:23]
	;; [unrolled: 1-line block ×3, first 2 shown]
	v_mad_u64_u32 v[7:8], s[0:1], s13, v8, v[7:8]
	v_lshrrev_b32_e32 v8, 3, v67
	v_lshlrev_b64 v[4:5], 4, v[61:62]
	v_mul_hi_u32 v8, v8, s3
	v_add_co_u32_e32 v4, vcc, v68, v4
	v_addc_co_u32_e32 v5, vcc, v69, v5, vcc
	global_store_dwordx4 v[4:5], v[0:3], off
	v_add_f64 v[18:19], v[41:42], -v[18:19]
	v_lshrrev_b32_e32 v2, 3, v8
	v_mad_u32_u24 v5, v2, s2, v67
	v_mad_u64_u32 v[2:3], s[0:1], s12, v5, 0
	v_lshlrev_b64 v[0:1], 4, v[6:7]
	v_add_u32_e32 v6, 0x2d8, v5
	v_mad_u64_u32 v[3:4], s[0:1], s13, v5, v[3:4]
	v_mad_u64_u32 v[4:5], s[0:1], s12, v6, 0
	v_fma_f64 v[30:31], v[41:42], 2.0, -v[18:19]
	v_add_co_u32_e32 v0, vcc, v68, v0
	v_addc_co_u32_e32 v1, vcc, v69, v1, vcc
	global_store_dwordx4 v[0:1], v[20:23], off
	v_lshlrev_b64 v[0:1], 4, v[2:3]
	v_mov_b32_e32 v2, v5
	v_mad_u64_u32 v[2:3], s[0:1], s13, v6, v[2:3]
	v_add_co_u32_e32 v0, vcc, v68, v0
	v_addc_co_u32_e32 v1, vcc, v69, v1, vcc
	v_mov_b32_e32 v5, v2
	global_store_dwordx4 v[0:1], v[28:31], off
	v_lshlrev_b64 v[0:1], 4, v[4:5]
	v_add_co_u32_e32 v0, vcc, v68, v0
	v_addc_co_u32_e32 v1, vcc, v69, v1, vcc
	global_store_dwordx4 v[0:1], v[16:19], off
.LBB0_25:
	s_endpgm
	.section	.rodata,"a",@progbits
	.p2align	6, 0x0
	.amdhsa_kernel fft_rtc_fwd_len1456_factors_13_4_7_2_2_wgs_182_tpt_182_halfLds_dp_ip_CI_sbrr_dirReg
		.amdhsa_group_segment_fixed_size 0
		.amdhsa_private_segment_fixed_size 0
		.amdhsa_kernarg_size 88
		.amdhsa_user_sgpr_count 6
		.amdhsa_user_sgpr_private_segment_buffer 1
		.amdhsa_user_sgpr_dispatch_ptr 0
		.amdhsa_user_sgpr_queue_ptr 0
		.amdhsa_user_sgpr_kernarg_segment_ptr 1
		.amdhsa_user_sgpr_dispatch_id 0
		.amdhsa_user_sgpr_flat_scratch_init 0
		.amdhsa_user_sgpr_private_segment_size 0
		.amdhsa_uses_dynamic_stack 0
		.amdhsa_system_sgpr_private_segment_wavefront_offset 0
		.amdhsa_system_sgpr_workgroup_id_x 1
		.amdhsa_system_sgpr_workgroup_id_y 0
		.amdhsa_system_sgpr_workgroup_id_z 0
		.amdhsa_system_sgpr_workgroup_info 0
		.amdhsa_system_vgpr_workitem_id 0
		.amdhsa_next_free_vgpr 210
		.amdhsa_next_free_sgpr 48
		.amdhsa_reserve_vcc 1
		.amdhsa_reserve_flat_scratch 0
		.amdhsa_float_round_mode_32 0
		.amdhsa_float_round_mode_16_64 0
		.amdhsa_float_denorm_mode_32 3
		.amdhsa_float_denorm_mode_16_64 3
		.amdhsa_dx10_clamp 1
		.amdhsa_ieee_mode 1
		.amdhsa_fp16_overflow 0
		.amdhsa_exception_fp_ieee_invalid_op 0
		.amdhsa_exception_fp_denorm_src 0
		.amdhsa_exception_fp_ieee_div_zero 0
		.amdhsa_exception_fp_ieee_overflow 0
		.amdhsa_exception_fp_ieee_underflow 0
		.amdhsa_exception_fp_ieee_inexact 0
		.amdhsa_exception_int_div_zero 0
	.end_amdhsa_kernel
	.text
.Lfunc_end0:
	.size	fft_rtc_fwd_len1456_factors_13_4_7_2_2_wgs_182_tpt_182_halfLds_dp_ip_CI_sbrr_dirReg, .Lfunc_end0-fft_rtc_fwd_len1456_factors_13_4_7_2_2_wgs_182_tpt_182_halfLds_dp_ip_CI_sbrr_dirReg
                                        ; -- End function
	.section	.AMDGPU.csdata,"",@progbits
; Kernel info:
; codeLenInByte = 11280
; NumSgprs: 52
; NumVgprs: 210
; ScratchSize: 0
; MemoryBound: 1
; FloatMode: 240
; IeeeMode: 1
; LDSByteSize: 0 bytes/workgroup (compile time only)
; SGPRBlocks: 6
; VGPRBlocks: 52
; NumSGPRsForWavesPerEU: 52
; NumVGPRsForWavesPerEU: 210
; Occupancy: 1
; WaveLimiterHint : 1
; COMPUTE_PGM_RSRC2:SCRATCH_EN: 0
; COMPUTE_PGM_RSRC2:USER_SGPR: 6
; COMPUTE_PGM_RSRC2:TRAP_HANDLER: 0
; COMPUTE_PGM_RSRC2:TGID_X_EN: 1
; COMPUTE_PGM_RSRC2:TGID_Y_EN: 0
; COMPUTE_PGM_RSRC2:TGID_Z_EN: 0
; COMPUTE_PGM_RSRC2:TIDIG_COMP_CNT: 0
	.type	__hip_cuid_cc44f43b53401cc1,@object ; @__hip_cuid_cc44f43b53401cc1
	.section	.bss,"aw",@nobits
	.globl	__hip_cuid_cc44f43b53401cc1
__hip_cuid_cc44f43b53401cc1:
	.byte	0                               ; 0x0
	.size	__hip_cuid_cc44f43b53401cc1, 1

	.ident	"AMD clang version 19.0.0git (https://github.com/RadeonOpenCompute/llvm-project roc-6.4.0 25133 c7fe45cf4b819c5991fe208aaa96edf142730f1d)"
	.section	".note.GNU-stack","",@progbits
	.addrsig
	.addrsig_sym __hip_cuid_cc44f43b53401cc1
	.amdgpu_metadata
---
amdhsa.kernels:
  - .args:
      - .actual_access:  read_only
        .address_space:  global
        .offset:         0
        .size:           8
        .value_kind:     global_buffer
      - .offset:         8
        .size:           8
        .value_kind:     by_value
      - .actual_access:  read_only
        .address_space:  global
        .offset:         16
        .size:           8
        .value_kind:     global_buffer
      - .actual_access:  read_only
        .address_space:  global
        .offset:         24
        .size:           8
        .value_kind:     global_buffer
      - .offset:         32
        .size:           8
        .value_kind:     by_value
      - .actual_access:  read_only
        .address_space:  global
        .offset:         40
        .size:           8
        .value_kind:     global_buffer
      - .actual_access:  read_only
        .address_space:  global
        .offset:         48
        .size:           8
        .value_kind:     global_buffer
      - .offset:         56
        .size:           4
        .value_kind:     by_value
      - .actual_access:  read_only
        .address_space:  global
        .offset:         64
        .size:           8
        .value_kind:     global_buffer
      - .actual_access:  read_only
        .address_space:  global
        .offset:         72
        .size:           8
        .value_kind:     global_buffer
      - .address_space:  global
        .offset:         80
        .size:           8
        .value_kind:     global_buffer
    .group_segment_fixed_size: 0
    .kernarg_segment_align: 8
    .kernarg_segment_size: 88
    .language:       OpenCL C
    .language_version:
      - 2
      - 0
    .max_flat_workgroup_size: 182
    .name:           fft_rtc_fwd_len1456_factors_13_4_7_2_2_wgs_182_tpt_182_halfLds_dp_ip_CI_sbrr_dirReg
    .private_segment_fixed_size: 0
    .sgpr_count:     52
    .sgpr_spill_count: 0
    .symbol:         fft_rtc_fwd_len1456_factors_13_4_7_2_2_wgs_182_tpt_182_halfLds_dp_ip_CI_sbrr_dirReg.kd
    .uniform_work_group_size: 1
    .uses_dynamic_stack: false
    .vgpr_count:     210
    .vgpr_spill_count: 0
    .wavefront_size: 64
amdhsa.target:   amdgcn-amd-amdhsa--gfx906
amdhsa.version:
  - 1
  - 2
...

	.end_amdgpu_metadata
